;; amdgpu-corpus repo=zjin-lcf/HeCBench kind=compiled arch=gfx90a opt=O3
	.text
	.amdgcn_target "amdgcn-amd-amdhsa--gfx90a"
	.amdhsa_code_object_version 6
	.protected	_Z16pair_HMM_forwardiiPA41_A4_A2_KdPA4_A2_A3_S_S3_PA2_S1_PS0_PA41_A4_A2_d ; -- Begin function _Z16pair_HMM_forwardiiPA41_A4_A2_KdPA4_A2_A3_S_S3_PA2_S1_PS0_PA41_A4_A2_d
	.globl	_Z16pair_HMM_forwardiiPA41_A4_A2_KdPA4_A2_A3_S_S3_PA2_S1_PS0_PA41_A4_A2_d
	.p2align	8
	.type	_Z16pair_HMM_forwardiiPA41_A4_A2_KdPA4_A2_A3_S_S3_PA2_S1_PS0_PA41_A4_A2_d,@function
_Z16pair_HMM_forwardiiPA41_A4_A2_KdPA4_A2_A3_S_S3_PA2_S1_PS0_PA41_A4_A2_d: ; @_Z16pair_HMM_forwardiiPA41_A4_A2_KdPA4_A2_A3_S_S3_PA2_S1_PS0_PA41_A4_A2_d
; %bb.0:
	s_load_dwordx8 s[12:19], s[4:5], 0x0
	s_add_u32 s0, s0, s9
	s_addc_u32 s1, s1, 0
	s_ashr_i32 s9, s8, 31
	v_lshlrev_b32_e32 v2, 3, v0
	s_waitcnt lgkmcnt(0)
	s_ashr_i32 s35, s13, 31
	s_mul_i32 s7, s12, 0xa40
	s_mov_b32 s34, s13
	s_mul_hi_i32 s6, s12, 0xa40
	s_add_u32 s7, s18, s7
	s_addc_u32 s6, s19, s6
	s_lshl_b64 s[30:31], s[34:35], 6
	s_add_u32 s10, s7, s30
	s_addc_u32 s11, s6, s31
	s_lshl_b64 s[6:7], s[8:9], 4
	s_add_u32 s10, s10, s6
	s_addc_u32 s11, s11, s7
	global_load_dwordx2 v[0:1], v2, s[10:11]
	s_mul_i32 s20, s12, 0xc0
	s_mul_hi_i32 s19, s12, 0xc0
	s_add_u32 s16, s16, s20
	s_mul_i32 s18, s8, 48
	s_addc_u32 s17, s17, s19
	s_mul_hi_i32 s9, s8, 48
	s_add_u32 s20, s16, s18
	s_addc_u32 s21, s17, s9
	s_add_u32 s40, s20, 0xffffff40
	s_load_dwordx2 s[28:29], s[4:5], 0x20
	s_load_dwordx2 s[10:11], s[4:5], 0x30
	s_load_dwordx4 s[36:39], s[20:21], 0x0
	s_load_dwordx4 s[16:19], s[20:21], 0x18
	s_addc_u32 s41, s21, -1
	s_lshl_b32 s9, s8, 5
	s_add_u32 s42, s20, 0xffffff58
	s_addc_u32 s43, s21, -1
	s_load_dwordx4 s[24:27], s[40:41], 0x0
	s_load_dwordx4 s[20:23], s[42:43], 0x0
	v_mov_b32_e32 v4, 0
	v_add_u32_e32 v7, 0x100, v4
	s_cmp_gt_i32 s12, 0
	v_add_u32_e32 v8, 0x80, v4
	v_add_u32_e32 v6, 0x180, v4
	v_add_u32_e32 v4, s9, v4
	v_add_u32_e32 v9, s9, v7
	s_waitcnt lgkmcnt(0)
	v_mov_b32_e32 v11, s37
	v_mov_b32_e32 v15, s17
	;; [unrolled: 1-line block ×3, first 2 shown]
	s_cselect_b64 s[16:17], -1, 0
	s_cmp_lt_i32 s12, 1
	v_add_u32_e32 v10, s9, v6
	v_mov_b32_e32 v12, s36
	v_mov_b32_e32 v13, s39
	;; [unrolled: 1-line block ×5, first 2 shown]
	buffer_store_dword v11, v4, s[0:3], 0 offen offset:260
	buffer_store_dword v12, v4, s[0:3], 0 offen offset:256
	;; [unrolled: 1-line block ×14, first 2 shown]
	v_mov_b32_e32 v9, s25
	v_mov_b32_e32 v11, s24
	s_cselect_b64 s[18:19], -1, 0
	s_cmp_lg_u32 s13, 0
	v_add_u32_e32 v5, s9, v8
	v_mov_b32_e32 v12, s27
	v_mov_b32_e32 v13, s26
	buffer_store_dword v9, v4, s[0:3], 0 offen offset:4
	buffer_store_dword v11, v4, s[0:3], 0 offen
	buffer_store_dword v9, v4, s[0:3], 0 offen offset:132
	buffer_store_dword v11, v4, s[0:3], 0 offen offset:128
	;; [unrolled: 1-line block ×6, first 2 shown]
	v_mov_b32_e32 v9, s21
	v_mov_b32_e32 v11, s20
	s_cselect_b64 s[20:21], -1, 0
	s_or_b64 s[20:21], s[18:19], s[20:21]
	v_lshl_add_u32 v3, s8, 4, v2
	s_mov_b64 s[18:19], -1
	s_and_b64 vcc, exec, s[20:21]
	v_mov_b32_e32 v12, s23
	v_mov_b32_e32 v13, s22
	buffer_store_dword v9, v4, s[0:3], 0 offen offset:20
	buffer_store_dword v11, v4, s[0:3], 0 offen offset:16
	;; [unrolled: 1-line block ×8, first 2 shown]
	s_waitcnt vmcnt(30)
	ds_write_b64 v3, v[0:1] offset:256
	buffer_store_dword v17, v10, s[0:3], 0 offen offset:24
	buffer_store_dword v18, v10, s[0:3], 0 offen offset:28
	s_waitcnt lgkmcnt(0)
	s_barrier
	s_cbranch_vccz .LBB0_4
; %bb.1:
	s_cmp_lt_i32 s34, 1
	s_cselect_b64 s[18:19], -1, 0
	s_xor_b64 s[16:17], s[16:17], -1
	s_or_b64 s[16:17], s[16:17], s[18:19]
	s_and_b64 vcc, exec, s[16:17]
	s_cbranch_vccnz .LBB0_3
; %bb.2:
	s_add_i32 s16, s34, -1
	s_mov_b32 s17, 0
	s_lshl_b32 s20, s8, 4
	s_lshl_b64 s[16:17], s[16:17], 6
	s_mul_i32 s13, s12, 0xa40
	s_mul_hi_i32 s9, s12, 0xa40
	s_add_u32 s21, s14, s13
	s_addc_u32 s33, s15, s9
	s_add_u32 s16, s21, s16
	s_addc_u32 s17, s33, s17
	;; [unrolled: 2-line block ×3, first 2 shown]
	s_add_u32 s16, s22, 0xfffff5c0
	s_addc_u32 s17, s23, -1
	s_load_dwordx4 s[16:19], s[16:17], 0x0
	v_mov_b32_e32 v0, 0x200
	s_load_dwordx4 s[24:27], s[22:23], 0x0
	v_add_u32_e32 v36, s20, v0
	v_mov_b32_e32 v9, 0
	s_waitcnt lgkmcnt(0)
	v_mov_b32_e32 v0, s17
	s_add_u32 s17, s21, s30
	s_addc_u32 s21, s33, s31
	s_add_u32 s22, s17, s6
	s_addc_u32 s23, s21, s7
	s_add_u32 s34, s22, 0xfffff5c0
	s_addc_u32 s35, s23, -1
	s_load_dwordx4 s[36:39], s[34:35], 0x0
	s_load_dwordx4 s[40:43], s[22:23], 0x0
	buffer_store_dword v0, v36, s[0:3], 0 offen offset:4
	v_mov_b32_e32 v0, s16
	buffer_store_dword v0, v36, s[0:3], 0 offen
	s_waitcnt lgkmcnt(0)
	v_mov_b32_e32 v0, s37
	buffer_store_dword v0, v36, s[0:3], 0 offen offset:68
	v_mov_b32_e32 v0, s36
	buffer_store_dword v0, v36, s[0:3], 0 offen offset:64
	;; [unrolled: 2-line block ×11, first 2 shown]
	v_mov_b32_e32 v0, s26
	s_lshl_b32 s16, s8, 5
	buffer_store_dword v0, v36, s[0:3], 0 offen offset:136
	v_mov_b32_e32 v0, s43
	v_add_u32_e32 v9, s16, v9
	buffer_store_dword v0, v36, s[0:3], 0 offen offset:204
	v_mov_b32_e32 v0, s42
	v_add_u32_e32 v37, v9, v2
	v_add_u32_e32 v8, s16, v8
	buffer_store_dword v0, v36, s[0:3], 0 offen offset:200
	s_barrier
	buffer_load_dword v0, v36, s[0:3], 0 offen
	buffer_load_dword v1, v36, s[0:3], 0 offen offset:4
	buffer_load_dword v10, v36, s[0:3], 0 offen offset:8
	;; [unrolled: 1-line block ×3, first 2 shown]
	buffer_load_dword v12, v37, s[0:3], 0 offen
	buffer_load_dword v13, v37, s[0:3], 0 offen offset:4
	buffer_load_dword v14, v37, s[0:3], 0 offen offset:16
	buffer_load_dword v15, v37, s[0:3], 0 offen offset:20
	buffer_load_dword v17, v36, s[0:3], 0 offen offset:76
	buffer_load_dword v16, v36, s[0:3], 0 offen offset:72
	buffer_load_dword v19, v36, s[0:3], 0 offen offset:68
	buffer_load_dword v18, v36, s[0:3], 0 offen offset:64
	buffer_load_dword v21, v37, s[0:3], 0 offen offset:260
	buffer_load_dword v20, v37, s[0:3], 0 offen offset:256
	buffer_load_dword v23, v37, s[0:3], 0 offen offset:132
	buffer_load_dword v22, v37, s[0:3], 0 offen offset:128
	buffer_load_dword v24, v36, s[0:3], 0 offen offset:136
	buffer_load_dword v27, v36, s[0:3], 0 offen offset:132
	buffer_load_dword v26, v36, s[0:3], 0 offen offset:128
	v_add_u32_e32 v38, v8, v2
	v_add_u32_e32 v7, s16, v7
	;; [unrolled: 1-line block ×3, first 2 shown]
	s_add_u32 s16, s28, s6
	v_add_u32_e32 v39, v7, v2
	v_add_u32_e32 v40, v6, v2
	buffer_load_dword v6, v38, s[0:3], 0 offen offset:16
	buffer_load_dword v7, v38, s[0:3], 0 offen offset:20
	;; [unrolled: 1-line block ×13, first 2 shown]
	s_addc_u32 s17, s29, s7
                                        ; kill: killed $vgpr38
                                        ; kill: killed $vgpr39
                                        ; kill: killed $vgpr40
                                        ; kill: killed $vgpr37
                                        ; kill: killed $vgpr36
	global_load_dwordx2 v[36:37], v2, s[16:17]
	global_load_dwordx2 v[38:39], v2, s[16:17] offset:64
	global_load_dwordx2 v[40:41], v2, s[16:17] offset:128
	;; [unrolled: 1-line block ×3, first 2 shown]
	s_add_u32 s13, s10, s13
	s_addc_u32 s9, s11, s9
	s_add_u32 s13, s13, s30
	s_addc_u32 s9, s9, s31
                                        ; kill: killed $sgpr16 killed $sgpr17
	s_add_u32 s16, s13, s6
	s_addc_u32 s17, s9, s7
	s_waitcnt vmcnt(30)
	v_fma_f64 v[0:1], v[0:1], v[12:13], 0
	s_waitcnt vmcnt(20)
	v_fma_f64 v[12:13], v[18:19], v[22:23], 0
	v_fmac_f64_e32 v[0:1], v[10:11], v[14:15]
	s_waitcnt vmcnt(17)
	v_fma_f64 v[18:19], v[26:27], v[20:21], 0
	s_waitcnt vmcnt(15)
	v_fmac_f64_e32 v[12:13], v[16:17], v[6:7]
	s_waitcnt vmcnt(6)
	v_fma_f64 v[20:21], v[34:35], v[30:31], 0
	s_waitcnt vmcnt(5)
	v_fmac_f64_e32 v[18:19], v[24:25], v[8:9]
	s_waitcnt vmcnt(4)
	v_fmac_f64_e32 v[20:21], v[32:33], v[28:29]
	s_waitcnt vmcnt(3)
	v_mul_f64 v[0:1], v[0:1], v[36:37]
	s_waitcnt vmcnt(2)
	v_mul_f64 v[6:7], v[12:13], v[38:39]
	v_add_u32_e32 v12, s20, v2
	s_waitcnt vmcnt(1)
	v_mul_f64 v[8:9], v[18:19], v[40:41]
	s_waitcnt vmcnt(0)
	v_mul_f64 v[10:11], v[20:21], v[42:43]
	ds_write2_b64 v12, v[0:1], v[6:7] offset1:8
	ds_write2_b64 v12, v[8:9], v[10:11] offset0:16 offset1:24
	v_mov_b32_e32 v0, s20
	s_waitcnt lgkmcnt(0)
	s_barrier
	ds_read_b128 v[6:9], v0
	ds_read_b128 v[10:13], v0 offset:64
	ds_read_b128 v[14:17], v0 offset:128
	;; [unrolled: 1-line block ×4, first 2 shown]
	s_waitcnt lgkmcnt(3)
	v_add_f64 v[0:1], v[6:7], v[10:11]
	s_waitcnt lgkmcnt(2)
	v_add_f64 v[0:1], v[0:1], v[14:15]
	;; [unrolled: 2-line block ×3, first 2 shown]
	s_waitcnt lgkmcnt(0)
	v_mul_f64 v[6:7], v[0:1], v[22:23]
	v_add_f64 v[0:1], v[8:9], v[12:13]
	v_add_f64 v[0:1], v[0:1], v[16:17]
	;; [unrolled: 1-line block ×3, first 2 shown]
	v_mov_b32_e32 v10, 0
	v_mul_f64 v[8:9], v[0:1], v[24:25]
	global_store_dwordx4 v10, v[6:9], s[16:17]
.LBB0_3:
	s_mov_b64 s[18:19], 0
.LBB0_4:
	s_andn2_b64 vcc, exec, s[18:19]
	s_cbranch_vccnz .LBB0_9
; %bb.5:
	s_cmp_lg_u32 s12, 1
	s_mov_b64 s[16:17], -1
	s_cbranch_scc0 .LBB0_7
; %bb.6:
	s_lshl_b32 s9, s8, 5
	s_mul_i32 s17, s12, 0xa40
	s_mul_hi_i32 s16, s12, 0xa40
	s_add_u32 s12, s14, s17
	s_addc_u32 s13, s15, s16
	s_add_u32 s12, s12, s30
	s_addc_u32 s13, s13, s31
	;; [unrolled: 2-line block ×3, first 2 shown]
	buffer_load_dword v6, v4, s[0:3], 0 offen offset:128
	buffer_load_dword v7, v4, s[0:3], 0 offen offset:132
	;; [unrolled: 1-line block ×8, first 2 shown]
	global_load_dwordx2 v[0:1], v2, s[12:13] offset:-2624
	s_lshl_b32 s12, s8, 4
	v_mov_b32_e32 v4, 0x200
	s_add_i32 s8, s12, 0x140
	v_add_u32_e32 v4, s9, v4
	v_add_u32_e32 v14, s8, v2
	s_add_u32 s8, s28, s6
	v_add_u32_e32 v5, v4, v2
	s_addc_u32 s9, s29, s7
	v_add_u32_e32 v3, 0x100, v3
                                        ; kill: killed $sgpr8 killed $sgpr9
	s_waitcnt vmcnt(7)
	buffer_store_dword v7, v4, s[0:3], 0 offen offset:4
	buffer_store_dword v6, v4, s[0:3], 0 offen
	s_waitcnt vmcnt(7)
	buffer_store_dword v9, v4, s[0:3], 0 offen offset:12
	buffer_store_dword v8, v4, s[0:3], 0 offen offset:8
	s_waitcnt vmcnt(7)
	buffer_store_dword v11, v4, s[0:3], 0 offen offset:20
	buffer_store_dword v10, v4, s[0:3], 0 offen offset:16
	;; [unrolled: 3-line block ×3, first 2 shown]
	s_waitcnt vmcnt(8)
	ds_write_b64 v14, v[0:1]
	s_waitcnt lgkmcnt(0)
	s_barrier
	global_load_dwordx2 v[0:1], v2, s[8:9] offset:64
	buffer_load_dword v8, v5, s[0:3], 0 offen
	buffer_load_dword v9, v5, s[0:3], 0 offen offset:4
	buffer_load_dword v10, v5, s[0:3], 0 offen offset:16
	;; [unrolled: 1-line block ×3, first 2 shown]
	v_mov_b32_e32 v4, s12
	ds_read_b128 v[4:7], v4 offset:320
	ds_read_b64 v[12:13], v3
	v_add_u32_e32 v3, s12, v2
	s_add_u32 s8, s10, s17
	s_addc_u32 s9, s11, s16
	s_add_u32 s8, s8, s6
	s_addc_u32 s9, s9, s7
	s_mov_b64 s[16:17], 0
	s_waitcnt vmcnt(2) lgkmcnt(1)
	v_fma_f64 v[4:5], v[4:5], v[8:9], 0
	s_waitcnt lgkmcnt(0)
	v_mul_f64 v[0:1], v[12:13], v[0:1]
	s_waitcnt vmcnt(0)
	v_fmac_f64_e32 v[4:5], v[6:7], v[10:11]
	v_mul_f64 v[0:1], v[4:5], v[0:1]
	ds_write_b64 v3, v[0:1] offset:384
	s_waitcnt lgkmcnt(0)
	s_barrier
	ds_read_b64 v[0:1], v3 offset:384
	s_waitcnt lgkmcnt(0)
	global_store_dwordx2 v2, v[0:1], s[8:9]
.LBB0_7:
	s_andn2_b64 vcc, exec, s[16:17]
	s_cbranch_vccnz .LBB0_9
; %bb.8:
	s_load_dwordx2 s[4:5], s[4:5], 0x28
	ds_read_b64 v[4:5], v2 offset:256
	s_waitcnt lgkmcnt(0)
	s_add_u32 s4, s4, s6
	s_addc_u32 s5, s5, s7
	global_load_dwordx2 v[0:1], v2, s[4:5]
	s_add_u32 s4, s10, s6
	s_addc_u32 s5, s11, s7
	s_waitcnt vmcnt(0)
	v_mul_f64 v[0:1], v[0:1], v[4:5]
	global_store_dwordx2 v2, v[0:1], s[4:5] offset:2624
.LBB0_9:
	s_endpgm
	.section	.rodata,"a",@progbits
	.p2align	6, 0x0
	.amdhsa_kernel _Z16pair_HMM_forwardiiPA41_A4_A2_KdPA4_A2_A3_S_S3_PA2_S1_PS0_PA41_A4_A2_d
		.amdhsa_group_segment_fixed_size 448
		.amdhsa_private_segment_fixed_size 784
		.amdhsa_kernarg_size 56
		.amdhsa_user_sgpr_count 8
		.amdhsa_user_sgpr_private_segment_buffer 1
		.amdhsa_user_sgpr_dispatch_ptr 0
		.amdhsa_user_sgpr_queue_ptr 0
		.amdhsa_user_sgpr_kernarg_segment_ptr 1
		.amdhsa_user_sgpr_dispatch_id 0
		.amdhsa_user_sgpr_flat_scratch_init 1
		.amdhsa_user_sgpr_kernarg_preload_length 0
		.amdhsa_user_sgpr_kernarg_preload_offset 0
		.amdhsa_user_sgpr_private_segment_size 0
		.amdhsa_uses_dynamic_stack 0
		.amdhsa_system_sgpr_private_segment_wavefront_offset 1
		.amdhsa_system_sgpr_workgroup_id_x 1
		.amdhsa_system_sgpr_workgroup_id_y 0
		.amdhsa_system_sgpr_workgroup_id_z 0
		.amdhsa_system_sgpr_workgroup_info 0
		.amdhsa_system_vgpr_workitem_id 0
		.amdhsa_next_free_vgpr 44
		.amdhsa_next_free_sgpr 44
		.amdhsa_accum_offset 44
		.amdhsa_reserve_vcc 1
		.amdhsa_reserve_flat_scratch 0
		.amdhsa_float_round_mode_32 0
		.amdhsa_float_round_mode_16_64 0
		.amdhsa_float_denorm_mode_32 3
		.amdhsa_float_denorm_mode_16_64 3
		.amdhsa_dx10_clamp 1
		.amdhsa_ieee_mode 1
		.amdhsa_fp16_overflow 0
		.amdhsa_tg_split 0
		.amdhsa_exception_fp_ieee_invalid_op 0
		.amdhsa_exception_fp_denorm_src 0
		.amdhsa_exception_fp_ieee_div_zero 0
		.amdhsa_exception_fp_ieee_overflow 0
		.amdhsa_exception_fp_ieee_underflow 0
		.amdhsa_exception_fp_ieee_inexact 0
		.amdhsa_exception_int_div_zero 0
	.end_amdhsa_kernel
	.text
.Lfunc_end0:
	.size	_Z16pair_HMM_forwardiiPA41_A4_A2_KdPA4_A2_A3_S_S3_PA2_S1_PS0_PA41_A4_A2_d, .Lfunc_end0-_Z16pair_HMM_forwardiiPA41_A4_A2_KdPA4_A2_A3_S_S3_PA2_S1_PS0_PA41_A4_A2_d
                                        ; -- End function
	.section	.AMDGPU.csdata,"",@progbits
; Kernel info:
; codeLenInByte = 2184
; NumSgprs: 48
; NumVgprs: 44
; NumAgprs: 0
; TotalNumVgprs: 44
; ScratchSize: 784
; MemoryBound: 1
; FloatMode: 240
; IeeeMode: 1
; LDSByteSize: 448 bytes/workgroup (compile time only)
; SGPRBlocks: 5
; VGPRBlocks: 5
; NumSGPRsForWavesPerEU: 48
; NumVGPRsForWavesPerEU: 44
; AccumOffset: 44
; Occupancy: 8
; WaveLimiterHint : 1
; COMPUTE_PGM_RSRC2:SCRATCH_EN: 1
; COMPUTE_PGM_RSRC2:USER_SGPR: 8
; COMPUTE_PGM_RSRC2:TRAP_HANDLER: 0
; COMPUTE_PGM_RSRC2:TGID_X_EN: 1
; COMPUTE_PGM_RSRC2:TGID_Y_EN: 0
; COMPUTE_PGM_RSRC2:TGID_Z_EN: 0
; COMPUTE_PGM_RSRC2:TIDIG_COMP_CNT: 0
; COMPUTE_PGM_RSRC3_GFX90A:ACCUM_OFFSET: 10
; COMPUTE_PGM_RSRC3_GFX90A:TG_SPLIT: 0
	.text
	.p2alignl 6, 3212836864
	.fill 256, 4, 3212836864
	.type	__hip_cuid_6d7471e7d0ca0c6,@object ; @__hip_cuid_6d7471e7d0ca0c6
	.section	.bss,"aw",@nobits
	.globl	__hip_cuid_6d7471e7d0ca0c6
__hip_cuid_6d7471e7d0ca0c6:
	.byte	0                               ; 0x0
	.size	__hip_cuid_6d7471e7d0ca0c6, 1

	.ident	"AMD clang version 19.0.0git (https://github.com/RadeonOpenCompute/llvm-project roc-6.4.0 25133 c7fe45cf4b819c5991fe208aaa96edf142730f1d)"
	.section	".note.GNU-stack","",@progbits
	.addrsig
	.addrsig_sym __hip_cuid_6d7471e7d0ca0c6
	.amdgpu_metadata
---
amdhsa.kernels:
  - .agpr_count:     0
    .args:
      - .offset:         0
        .size:           4
        .value_kind:     by_value
      - .offset:         4
        .size:           4
        .value_kind:     by_value
      - .actual_access:  read_only
        .address_space:  global
        .offset:         8
        .size:           8
        .value_kind:     global_buffer
      - .actual_access:  read_only
        .address_space:  global
        .offset:         16
        .size:           8
        .value_kind:     global_buffer
      - .actual_access:  read_only
        .address_space:  global
        .offset:         24
        .size:           8
        .value_kind:     global_buffer
      - .actual_access:  read_only
        .address_space:  global
        .offset:         32
        .size:           8
        .value_kind:     global_buffer
      - .actual_access:  read_only
        .address_space:  global
        .offset:         40
        .size:           8
        .value_kind:     global_buffer
      - .actual_access:  write_only
        .address_space:  global
        .offset:         48
        .size:           8
        .value_kind:     global_buffer
    .group_segment_fixed_size: 448
    .kernarg_segment_align: 8
    .kernarg_segment_size: 56
    .language:       OpenCL C
    .language_version:
      - 2
      - 0
    .max_flat_workgroup_size: 1024
    .name:           _Z16pair_HMM_forwardiiPA41_A4_A2_KdPA4_A2_A3_S_S3_PA2_S1_PS0_PA41_A4_A2_d
    .private_segment_fixed_size: 784
    .sgpr_count:     48
    .sgpr_spill_count: 0
    .symbol:         _Z16pair_HMM_forwardiiPA41_A4_A2_KdPA4_A2_A3_S_S3_PA2_S1_PS0_PA41_A4_A2_d.kd
    .uniform_work_group_size: 1
    .uses_dynamic_stack: false
    .vgpr_count:     44
    .vgpr_spill_count: 0
    .wavefront_size: 64
amdhsa.target:   amdgcn-amd-amdhsa--gfx90a
amdhsa.version:
  - 1
  - 2
...

	.end_amdgpu_metadata
